;; amdgpu-corpus repo=ROCm/rocFFT kind=compiled arch=gfx1201 opt=O3
	.text
	.amdgcn_target "amdgcn-amd-amdhsa--gfx1201"
	.amdhsa_code_object_version 6
	.protected	fft_rtc_fwd_len52_factors_13_4_wgs_64_tpt_4_halfLds_dp_ip_CI_sbrr_dirReg ; -- Begin function fft_rtc_fwd_len52_factors_13_4_wgs_64_tpt_4_halfLds_dp_ip_CI_sbrr_dirReg
	.globl	fft_rtc_fwd_len52_factors_13_4_wgs_64_tpt_4_halfLds_dp_ip_CI_sbrr_dirReg
	.p2align	8
	.type	fft_rtc_fwd_len52_factors_13_4_wgs_64_tpt_4_halfLds_dp_ip_CI_sbrr_dirReg,@function
fft_rtc_fwd_len52_factors_13_4_wgs_64_tpt_4_halfLds_dp_ip_CI_sbrr_dirReg: ; @fft_rtc_fwd_len52_factors_13_4_wgs_64_tpt_4_halfLds_dp_ip_CI_sbrr_dirReg
; %bb.0:
	s_clause 0x2
	s_load_b64 s[12:13], s[0:1], 0x18
	s_load_b128 s[4:7], s[0:1], 0x0
	s_load_b64 s[10:11], s[0:1], 0x50
	v_lshrrev_b32_e32 v14, 2, v0
	v_mov_b32_e32 v3, 0
	v_mov_b32_e32 v1, 0
	;; [unrolled: 1-line block ×3, first 2 shown]
	s_delay_alu instid0(VALU_DEP_4) | instskip(NEXT) | instid1(VALU_DEP_4)
	v_lshl_or_b32 v5, ttmp9, 4, v14
	v_mov_b32_e32 v6, v3
	s_wait_kmcnt 0x0
	s_load_b64 s[8:9], s[12:13], 0x0
	v_cmp_lt_u64_e64 s2, s[6:7], 2
	s_delay_alu instid0(VALU_DEP_1)
	s_and_b32 vcc_lo, exec_lo, s2
	s_cbranch_vccnz .LBB0_8
; %bb.1:
	s_load_b64 s[2:3], s[0:1], 0x10
	v_mov_b32_e32 v1, 0
	v_mov_b32_e32 v2, 0
	s_add_nc_u64 s[14:15], s[12:13], 8
	s_mov_b64 s[16:17], 1
	s_wait_kmcnt 0x0
	s_add_nc_u64 s[18:19], s[2:3], 8
	s_mov_b32 s3, 0
.LBB0_2:                                ; =>This Inner Loop Header: Depth=1
	s_load_b64 s[20:21], s[18:19], 0x0
                                        ; implicit-def: $vgpr7_vgpr8
	s_mov_b32 s2, exec_lo
	s_wait_kmcnt 0x0
	v_or_b32_e32 v4, s21, v6
	s_delay_alu instid0(VALU_DEP_1)
	v_cmpx_ne_u64_e32 0, v[3:4]
	s_wait_alu 0xfffe
	s_xor_b32 s22, exec_lo, s2
	s_cbranch_execz .LBB0_4
; %bb.3:                                ;   in Loop: Header=BB0_2 Depth=1
	s_cvt_f32_u32 s2, s20
	s_cvt_f32_u32 s23, s21
	s_sub_nc_u64 s[26:27], 0, s[20:21]
	s_wait_alu 0xfffe
	s_delay_alu instid0(SALU_CYCLE_1) | instskip(SKIP_1) | instid1(SALU_CYCLE_2)
	s_fmamk_f32 s2, s23, 0x4f800000, s2
	s_wait_alu 0xfffe
	v_s_rcp_f32 s2, s2
	s_delay_alu instid0(TRANS32_DEP_1) | instskip(SKIP_1) | instid1(SALU_CYCLE_2)
	s_mul_f32 s2, s2, 0x5f7ffffc
	s_wait_alu 0xfffe
	s_mul_f32 s23, s2, 0x2f800000
	s_wait_alu 0xfffe
	s_delay_alu instid0(SALU_CYCLE_2) | instskip(SKIP_1) | instid1(SALU_CYCLE_2)
	s_trunc_f32 s23, s23
	s_wait_alu 0xfffe
	s_fmamk_f32 s2, s23, 0xcf800000, s2
	s_cvt_u32_f32 s25, s23
	s_wait_alu 0xfffe
	s_delay_alu instid0(SALU_CYCLE_1) | instskip(SKIP_1) | instid1(SALU_CYCLE_2)
	s_cvt_u32_f32 s24, s2
	s_wait_alu 0xfffe
	s_mul_u64 s[28:29], s[26:27], s[24:25]
	s_wait_alu 0xfffe
	s_mul_hi_u32 s31, s24, s29
	s_mul_i32 s30, s24, s29
	s_mul_hi_u32 s2, s24, s28
	s_mul_i32 s33, s25, s28
	s_wait_alu 0xfffe
	s_add_nc_u64 s[30:31], s[2:3], s[30:31]
	s_mul_hi_u32 s23, s25, s28
	s_mul_hi_u32 s34, s25, s29
	s_add_co_u32 s2, s30, s33
	s_wait_alu 0xfffe
	s_add_co_ci_u32 s2, s31, s23
	s_mul_i32 s28, s25, s29
	s_add_co_ci_u32 s29, s34, 0
	s_wait_alu 0xfffe
	s_add_nc_u64 s[28:29], s[2:3], s[28:29]
	s_wait_alu 0xfffe
	v_add_co_u32 v4, s2, s24, s28
	s_delay_alu instid0(VALU_DEP_1) | instskip(SKIP_1) | instid1(VALU_DEP_1)
	s_cmp_lg_u32 s2, 0
	s_add_co_ci_u32 s25, s25, s29
	v_readfirstlane_b32 s24, v4
	s_wait_alu 0xfffe
	s_delay_alu instid0(VALU_DEP_1)
	s_mul_u64 s[26:27], s[26:27], s[24:25]
	s_wait_alu 0xfffe
	s_mul_hi_u32 s29, s24, s27
	s_mul_i32 s28, s24, s27
	s_mul_hi_u32 s2, s24, s26
	s_mul_i32 s30, s25, s26
	s_wait_alu 0xfffe
	s_add_nc_u64 s[28:29], s[2:3], s[28:29]
	s_mul_hi_u32 s23, s25, s26
	s_mul_hi_u32 s24, s25, s27
	s_wait_alu 0xfffe
	s_add_co_u32 s2, s28, s30
	s_add_co_ci_u32 s2, s29, s23
	s_mul_i32 s26, s25, s27
	s_add_co_ci_u32 s27, s24, 0
	s_wait_alu 0xfffe
	s_add_nc_u64 s[26:27], s[2:3], s[26:27]
	s_wait_alu 0xfffe
	v_add_co_u32 v4, s2, v4, s26
	s_delay_alu instid0(VALU_DEP_1) | instskip(SKIP_1) | instid1(VALU_DEP_1)
	s_cmp_lg_u32 s2, 0
	s_add_co_ci_u32 s2, s25, s27
	v_mul_hi_u32 v13, v5, v4
	s_wait_alu 0xfffe
	v_mad_co_u64_u32 v[7:8], null, v5, s2, 0
	v_mad_co_u64_u32 v[9:10], null, v6, v4, 0
	;; [unrolled: 1-line block ×3, first 2 shown]
	s_delay_alu instid0(VALU_DEP_3) | instskip(SKIP_1) | instid1(VALU_DEP_4)
	v_add_co_u32 v4, vcc_lo, v13, v7
	s_wait_alu 0xfffd
	v_add_co_ci_u32_e32 v7, vcc_lo, 0, v8, vcc_lo
	s_delay_alu instid0(VALU_DEP_2) | instskip(SKIP_1) | instid1(VALU_DEP_2)
	v_add_co_u32 v4, vcc_lo, v4, v9
	s_wait_alu 0xfffd
	v_add_co_ci_u32_e32 v4, vcc_lo, v7, v10, vcc_lo
	s_wait_alu 0xfffd
	v_add_co_ci_u32_e32 v7, vcc_lo, 0, v12, vcc_lo
	s_delay_alu instid0(VALU_DEP_2) | instskip(SKIP_1) | instid1(VALU_DEP_2)
	v_add_co_u32 v4, vcc_lo, v4, v11
	s_wait_alu 0xfffd
	v_add_co_ci_u32_e32 v9, vcc_lo, 0, v7, vcc_lo
	s_delay_alu instid0(VALU_DEP_2) | instskip(SKIP_1) | instid1(VALU_DEP_3)
	v_mul_lo_u32 v10, s21, v4
	v_mad_co_u64_u32 v[7:8], null, s20, v4, 0
	v_mul_lo_u32 v11, s20, v9
	s_delay_alu instid0(VALU_DEP_2) | instskip(NEXT) | instid1(VALU_DEP_2)
	v_sub_co_u32 v7, vcc_lo, v5, v7
	v_add3_u32 v8, v8, v11, v10
	s_delay_alu instid0(VALU_DEP_1) | instskip(SKIP_1) | instid1(VALU_DEP_1)
	v_sub_nc_u32_e32 v10, v6, v8
	s_wait_alu 0xfffd
	v_subrev_co_ci_u32_e64 v10, s2, s21, v10, vcc_lo
	v_add_co_u32 v11, s2, v4, 2
	s_wait_alu 0xf1ff
	v_add_co_ci_u32_e64 v12, s2, 0, v9, s2
	v_sub_co_u32 v13, s2, v7, s20
	v_sub_co_ci_u32_e32 v8, vcc_lo, v6, v8, vcc_lo
	s_wait_alu 0xf1ff
	v_subrev_co_ci_u32_e64 v10, s2, 0, v10, s2
	s_delay_alu instid0(VALU_DEP_3) | instskip(NEXT) | instid1(VALU_DEP_3)
	v_cmp_le_u32_e32 vcc_lo, s20, v13
	v_cmp_eq_u32_e64 s2, s21, v8
	s_wait_alu 0xfffd
	v_cndmask_b32_e64 v13, 0, -1, vcc_lo
	v_cmp_le_u32_e32 vcc_lo, s21, v10
	s_wait_alu 0xfffd
	v_cndmask_b32_e64 v15, 0, -1, vcc_lo
	v_cmp_le_u32_e32 vcc_lo, s20, v7
	;; [unrolled: 3-line block ×3, first 2 shown]
	s_wait_alu 0xfffd
	v_cndmask_b32_e64 v16, 0, -1, vcc_lo
	v_cmp_eq_u32_e32 vcc_lo, s21, v10
	s_wait_alu 0xf1ff
	s_delay_alu instid0(VALU_DEP_2)
	v_cndmask_b32_e64 v7, v16, v7, s2
	s_wait_alu 0xfffd
	v_cndmask_b32_e32 v10, v15, v13, vcc_lo
	v_add_co_u32 v13, vcc_lo, v4, 1
	s_wait_alu 0xfffd
	v_add_co_ci_u32_e32 v15, vcc_lo, 0, v9, vcc_lo
	s_delay_alu instid0(VALU_DEP_3) | instskip(SKIP_2) | instid1(VALU_DEP_3)
	v_cmp_ne_u32_e32 vcc_lo, 0, v10
	s_wait_alu 0xfffd
	v_cndmask_b32_e32 v10, v13, v11, vcc_lo
	v_cndmask_b32_e32 v8, v15, v12, vcc_lo
	v_cmp_ne_u32_e32 vcc_lo, 0, v7
	s_wait_alu 0xfffd
	s_delay_alu instid0(VALU_DEP_2)
	v_dual_cndmask_b32 v7, v4, v10 :: v_dual_cndmask_b32 v8, v9, v8
.LBB0_4:                                ;   in Loop: Header=BB0_2 Depth=1
	s_wait_alu 0xfffe
	s_and_not1_saveexec_b32 s2, s22
	s_cbranch_execz .LBB0_6
; %bb.5:                                ;   in Loop: Header=BB0_2 Depth=1
	v_cvt_f32_u32_e32 v4, s20
	s_sub_co_i32 s22, 0, s20
	s_delay_alu instid0(VALU_DEP_1) | instskip(NEXT) | instid1(TRANS32_DEP_1)
	v_rcp_iflag_f32_e32 v4, v4
	v_mul_f32_e32 v4, 0x4f7ffffe, v4
	s_delay_alu instid0(VALU_DEP_1) | instskip(SKIP_1) | instid1(VALU_DEP_1)
	v_cvt_u32_f32_e32 v4, v4
	s_wait_alu 0xfffe
	v_mul_lo_u32 v7, s22, v4
	s_delay_alu instid0(VALU_DEP_1) | instskip(NEXT) | instid1(VALU_DEP_1)
	v_mul_hi_u32 v7, v4, v7
	v_add_nc_u32_e32 v4, v4, v7
	s_delay_alu instid0(VALU_DEP_1) | instskip(NEXT) | instid1(VALU_DEP_1)
	v_mul_hi_u32 v4, v5, v4
	v_mul_lo_u32 v7, v4, s20
	v_add_nc_u32_e32 v8, 1, v4
	s_delay_alu instid0(VALU_DEP_2) | instskip(NEXT) | instid1(VALU_DEP_1)
	v_sub_nc_u32_e32 v7, v5, v7
	v_subrev_nc_u32_e32 v9, s20, v7
	v_cmp_le_u32_e32 vcc_lo, s20, v7
	s_wait_alu 0xfffd
	s_delay_alu instid0(VALU_DEP_2) | instskip(NEXT) | instid1(VALU_DEP_1)
	v_dual_cndmask_b32 v7, v7, v9 :: v_dual_cndmask_b32 v4, v4, v8
	v_cmp_le_u32_e32 vcc_lo, s20, v7
	s_delay_alu instid0(VALU_DEP_2) | instskip(SKIP_1) | instid1(VALU_DEP_1)
	v_add_nc_u32_e32 v8, 1, v4
	s_wait_alu 0xfffd
	v_dual_cndmask_b32 v7, v4, v8 :: v_dual_mov_b32 v8, v3
.LBB0_6:                                ;   in Loop: Header=BB0_2 Depth=1
	s_wait_alu 0xfffe
	s_or_b32 exec_lo, exec_lo, s2
	s_load_b64 s[22:23], s[14:15], 0x0
	s_delay_alu instid0(VALU_DEP_1)
	v_mul_lo_u32 v4, v8, s20
	v_mul_lo_u32 v11, v7, s21
	v_mad_co_u64_u32 v[9:10], null, v7, s20, 0
	s_add_nc_u64 s[16:17], s[16:17], 1
	s_add_nc_u64 s[14:15], s[14:15], 8
	s_wait_alu 0xfffe
	v_cmp_ge_u64_e64 s2, s[16:17], s[6:7]
	s_add_nc_u64 s[18:19], s[18:19], 8
	s_delay_alu instid0(VALU_DEP_2) | instskip(NEXT) | instid1(VALU_DEP_3)
	v_add3_u32 v4, v10, v11, v4
	v_sub_co_u32 v5, vcc_lo, v5, v9
	s_wait_alu 0xfffd
	s_delay_alu instid0(VALU_DEP_2) | instskip(SKIP_3) | instid1(VALU_DEP_2)
	v_sub_co_ci_u32_e32 v4, vcc_lo, v6, v4, vcc_lo
	s_and_b32 vcc_lo, exec_lo, s2
	s_wait_kmcnt 0x0
	v_mul_lo_u32 v6, s23, v5
	v_mul_lo_u32 v4, s22, v4
	v_mad_co_u64_u32 v[1:2], null, s22, v5, v[1:2]
	s_delay_alu instid0(VALU_DEP_1)
	v_add3_u32 v2, v6, v2, v4
	s_wait_alu 0xfffe
	s_cbranch_vccnz .LBB0_9
; %bb.7:                                ;   in Loop: Header=BB0_2 Depth=1
	v_dual_mov_b32 v5, v7 :: v_dual_mov_b32 v6, v8
	s_branch .LBB0_2
.LBB0_8:
	v_dual_mov_b32 v8, v6 :: v_dual_mov_b32 v7, v5
.LBB0_9:
	s_lshl_b64 s[2:3], s[6:7], 3
	v_and_b32_e32 v88, 3, v0
	s_wait_alu 0xfffe
	s_add_nc_u64 s[2:3], s[12:13], s[2:3]
                                        ; implicit-def: $vgpr89
                                        ; implicit-def: $vgpr90
	s_load_b64 s[2:3], s[2:3], 0x0
	s_load_b64 s[0:1], s[0:1], 0x20
	v_or_b32_e32 v86, 4, v88
	v_or_b32_e32 v87, 8, v88
	s_wait_kmcnt 0x0
	v_mul_lo_u32 v3, s2, v8
	v_mul_lo_u32 v4, s3, v7
	v_mad_co_u64_u32 v[1:2], null, s2, v7, v[1:2]
	v_cmp_gt_u64_e32 vcc_lo, s[0:1], v[7:8]
	v_cmp_le_u64_e64 s0, s[0:1], v[7:8]
	s_delay_alu instid0(VALU_DEP_3) | instskip(NEXT) | instid1(VALU_DEP_2)
	v_add3_u32 v2, v4, v2, v3
	s_and_saveexec_b32 s1, s0
	s_wait_alu 0xfffe
	s_xor_b32 s0, exec_lo, s1
; %bb.10:
	v_or_b32_e32 v89, 4, v88
	v_or_b32_e32 v90, 8, v88
; %bb.11:
	s_wait_alu 0xfffe
	s_or_saveexec_b32 s1, s0
	v_lshlrev_b64_e32 v[76:77], 4, v[1:2]
                                        ; implicit-def: $vgpr46_vgpr47
                                        ; implicit-def: $vgpr54_vgpr55
                                        ; implicit-def: $vgpr22_vgpr23
                                        ; implicit-def: $vgpr26_vgpr27
                                        ; implicit-def: $vgpr38_vgpr39
                                        ; implicit-def: $vgpr18_vgpr19
                                        ; implicit-def: $vgpr2_vgpr3
                                        ; implicit-def: $vgpr10_vgpr11
                                        ; implicit-def: $vgpr58_vgpr59
                                        ; implicit-def: $vgpr30_vgpr31
                                        ; implicit-def: $vgpr42_vgpr43
                                        ; implicit-def: $vgpr50_vgpr51
                                        ; implicit-def: $vgpr6_vgpr7
	s_wait_alu 0xfffe
	s_xor_b32 exec_lo, exec_lo, s1
	s_cbranch_execz .LBB0_13
; %bb.12:
	v_mad_co_u64_u32 v[0:1], null, s8, v88, 0
	v_mad_co_u64_u32 v[2:3], null, s8, v86, 0
	;; [unrolled: 1-line block ×3, first 2 shown]
	v_or_b32_e32 v7, 12, v88
	v_add_co_u32 v19, s0, s10, v76
	s_wait_alu 0xf1ff
	v_add_co_ci_u32_e64 v35, s0, s11, v77, s0
	v_mad_co_u64_u32 v[4:5], null, s9, v88, v[1:2]
	v_mov_b32_e32 v1, v3
	v_mad_co_u64_u32 v[10:11], null, s8, v7, 0
	v_or_b32_e32 v15, 16, v88
	v_or_b32_e32 v17, 20, v88
	s_delay_alu instid0(VALU_DEP_4) | instskip(SKIP_4) | instid1(VALU_DEP_4)
	v_mad_co_u64_u32 v[5:6], null, s9, v86, v[1:2]
	v_dual_mov_b32 v1, v4 :: v_dual_mov_b32 v4, v9
	v_or_b32_e32 v20, 24, v88
	v_or_b32_e32 v21, 28, v88
	;; [unrolled: 1-line block ×3, first 2 shown]
	v_lshlrev_b64_e32 v[0:1], 4, v[0:1]
	v_mov_b32_e32 v3, v5
	v_mad_co_u64_u32 v[4:5], null, s9, v87, v[4:5]
	v_mov_b32_e32 v5, v11
	v_or_b32_e32 v25, 40, v88
	s_delay_alu instid0(VALU_DEP_4) | instskip(SKIP_4) | instid1(VALU_DEP_4)
	v_lshlrev_b64_e32 v[2:3], 4, v[2:3]
	v_add_co_u32 v0, s0, v19, v0
	s_wait_alu 0xf1ff
	v_add_co_ci_u32_e64 v1, s0, v35, v1, s0
	v_mad_co_u64_u32 v[11:12], null, s9, v7, v[5:6]
	v_add_co_u32 v2, s0, v19, v2
	s_wait_alu 0xf1ff
	v_add_co_ci_u32_e64 v3, s0, v35, v3, s0
	v_mov_b32_e32 v9, v4
	s_clause 0x1
	global_load_b128 v[4:7], v[0:1], off
	global_load_b128 v[44:47], v[2:3], off
	v_mad_co_u64_u32 v[12:13], null, s8, v15, 0
	v_lshlrev_b64_e32 v[0:1], 4, v[8:9]
	v_mad_co_u64_u32 v[8:9], null, s8, v17, 0
	v_lshlrev_b64_e32 v[10:11], 4, v[10:11]
	v_or_b32_e32 v36, 44, v88
	v_or_b32_e32 v37, 48, v88
	v_mov_b32_e32 v2, v13
	v_add_co_u32 v0, s0, v19, v0
	s_wait_alu 0xf1ff
	v_add_co_ci_u32_e64 v1, s0, v35, v1, s0
	s_delay_alu instid0(VALU_DEP_3)
	v_mad_co_u64_u32 v[2:3], null, s9, v15, v[2:3]
	v_mov_b32_e32 v3, v9
	v_mad_co_u64_u32 v[15:16], null, s8, v20, 0
	v_add_co_u32 v9, s0, v19, v10
	s_wait_alu 0xf1ff
	v_add_co_ci_u32_e64 v10, s0, v35, v11, s0
	v_mov_b32_e32 v13, v2
	s_clause 0x1
	global_load_b128 v[52:55], v[0:1], off
	global_load_b128 v[48:51], v[9:10], off
	v_dual_mov_b32 v89, v86 :: v_dual_mov_b32 v90, v87
	v_lshlrev_b64_e32 v[0:1], 4, v[12:13]
	s_delay_alu instid0(VALU_DEP_1) | instskip(SKIP_1) | instid1(VALU_DEP_2)
	v_add_co_u32 v0, s0, v19, v0
	s_wait_alu 0xf1ff
	v_add_co_ci_u32_e64 v1, s0, v35, v1, s0
	s_wait_loadcnt 0x3
	v_mad_co_u64_u32 v[2:3], null, s9, v17, v[3:4]
	v_mad_co_u64_u32 v[17:18], null, s8, v21, 0
	v_mov_b32_e32 v3, v16
	s_delay_alu instid0(VALU_DEP_3) | instskip(NEXT) | instid1(VALU_DEP_2)
	v_mov_b32_e32 v9, v2
	v_mad_co_u64_u32 v[10:11], null, s9, v20, v[3:4]
	s_delay_alu instid0(VALU_DEP_4) | instskip(NEXT) | instid1(VALU_DEP_3)
	v_mov_b32_e32 v2, v18
	v_lshlrev_b64_e32 v[8:9], 4, v[8:9]
	s_delay_alu instid0(VALU_DEP_2) | instskip(SKIP_2) | instid1(VALU_DEP_4)
	v_mad_co_u64_u32 v[2:3], null, s9, v21, v[2:3]
	v_or_b32_e32 v3, 32, v88
	v_mov_b32_e32 v16, v10
	v_add_co_u32 v8, s0, v19, v8
	s_wait_alu 0xf1ff
	v_add_co_ci_u32_e64 v9, s0, v35, v9, s0
	v_mad_co_u64_u32 v[12:13], null, s8, v3, 0
	v_lshlrev_b64_e32 v[10:11], 4, v[15:16]
	v_mov_b32_e32 v18, v2
	s_clause 0x1
	global_load_b128 v[40:43], v[0:1], off
	global_load_b128 v[20:23], v[8:9], off
	v_mad_co_u64_u32 v[15:16], null, s8, v25, 0
	v_mov_b32_e32 v2, v13
	v_add_co_u32 v0, s0, v19, v10
	s_wait_alu 0xf1ff
	v_add_co_ci_u32_e64 v1, s0, v35, v11, s0
	s_delay_alu instid0(VALU_DEP_3)
	v_mad_co_u64_u32 v[2:3], null, s9, v3, v[2:3]
	v_mad_co_u64_u32 v[10:11], null, s8, v24, 0
	v_lshlrev_b64_e32 v[8:9], 4, v[17:18]
	v_mad_co_u64_u32 v[17:18], null, s8, v36, 0
	v_mov_b32_e32 v3, v16
	v_mov_b32_e32 v13, v2
	s_delay_alu instid0(VALU_DEP_4) | instskip(SKIP_3) | instid1(VALU_DEP_2)
	v_add_co_u32 v8, s0, v19, v8
	v_mov_b32_e32 v2, v11
	s_wait_alu 0xf1ff
	v_add_co_ci_u32_e64 v9, s0, v35, v9, s0
	v_mad_co_u64_u32 v[32:33], null, s9, v24, v[2:3]
	v_mad_co_u64_u32 v[2:3], null, s9, v25, v[3:4]
	s_clause 0x1
	global_load_b128 v[24:27], v[0:1], off
	global_load_b128 v[28:31], v[8:9], off
	v_mov_b32_e32 v0, v18
	v_mad_co_u64_u32 v[33:34], null, s8, v37, 0
	v_mov_b32_e32 v11, v32
	s_delay_alu instid0(VALU_DEP_3) | instskip(NEXT) | instid1(VALU_DEP_3)
	v_mad_co_u64_u32 v[0:1], null, s9, v36, v[0:1]
	v_dual_mov_b32 v16, v2 :: v_dual_mov_b32 v1, v34
	s_delay_alu instid0(VALU_DEP_2) | instskip(SKIP_1) | instid1(VALU_DEP_1)
	v_mov_b32_e32 v18, v0
	v_lshlrev_b64_e32 v[8:9], 4, v[12:13]
	v_add_co_u32 v2, s0, v19, v8
	s_wait_alu 0xf1ff
	s_delay_alu instid0(VALU_DEP_2) | instskip(SKIP_1) | instid1(VALU_DEP_3)
	v_add_co_ci_u32_e64 v3, s0, v35, v9, s0
	v_lshlrev_b64_e32 v[8:9], 4, v[10:11]
	v_mad_co_u64_u32 v[10:11], null, s9, v37, v[1:2]
	v_lshlrev_b64_e32 v[11:12], 4, v[15:16]
	s_delay_alu instid0(VALU_DEP_3) | instskip(SKIP_1) | instid1(VALU_DEP_4)
	v_add_co_u32 v0, s0, v19, v8
	s_wait_alu 0xf1ff
	v_add_co_ci_u32_e64 v1, s0, v35, v9, s0
	s_delay_alu instid0(VALU_DEP_4)
	v_mov_b32_e32 v34, v10
	v_lshlrev_b64_e32 v[8:9], 4, v[17:18]
	v_add_co_u32 v10, s0, v19, v11
	s_wait_alu 0xf1ff
	v_add_co_ci_u32_e64 v11, s0, v35, v12, s0
	v_lshlrev_b64_e32 v[12:13], 4, v[33:34]
	s_delay_alu instid0(VALU_DEP_4) | instskip(SKIP_2) | instid1(VALU_DEP_3)
	v_add_co_u32 v8, s0, v19, v8
	s_wait_alu 0xf1ff
	v_add_co_ci_u32_e64 v9, s0, v35, v9, s0
	v_add_co_u32 v12, s0, v19, v12
	s_wait_alu 0xf1ff
	v_add_co_ci_u32_e64 v13, s0, v35, v13, s0
	s_clause 0x4
	global_load_b128 v[56:59], v[2:3], off
	global_load_b128 v[36:39], v[0:1], off
	;; [unrolled: 1-line block ×5, first 2 shown]
.LBB0_13:
	s_or_b32 exec_lo, exec_lo, s1
	s_wait_loadcnt 0xb
	v_add_f64_e32 v[12:13], v[44:45], v[4:5]
	s_wait_loadcnt 0x0
	v_add_f64_e32 v[32:33], v[44:45], v[0:1]
	s_mov_b32 s14, 0xe00740e9
	s_mov_b32 s6, 0x1ea71119
	;; [unrolled: 1-line block ×10, first 2 shown]
	v_add_f64_e64 v[34:35], v[46:47], -v[2:3]
	v_add_f64_e32 v[60:61], v[52:53], v[8:9]
	s_mov_b32 s2, 0xebaa3ed8
	s_mov_b32 s3, 0x3fbedb7d
	;; [unrolled: 1-line block ×13, first 2 shown]
	s_wait_alu 0xfffe
	s_mov_b32 s34, s24
	s_mov_b32 s22, s42
	;; [unrolled: 1-line block ×7, first 2 shown]
	v_add_f64_e32 v[72:73], v[16:17], v[48:49]
	s_mov_b32 s29, 0xbfe5384d
	v_add_f64_e64 v[74:75], v[54:55], -v[10:11]
	s_mov_b32 s44, s26
	v_add_f64_e32 v[12:13], v[52:53], v[12:13]
	v_mul_f64_e32 v[62:63], s[14:15], v[32:33]
	v_mul_f64_e32 v[64:65], s[6:7], v[32:33]
	;; [unrolled: 1-line block ×6, first 2 shown]
	s_mov_b32 s28, s40
	s_mov_b32 s21, 0x3fefc445
	;; [unrolled: 1-line block ×3, first 2 shown]
	s_wait_alu 0xfffe
	s_mov_b32 s38, s20
	v_add_f64_e32 v[105:106], v[36:37], v[40:41]
	v_cmp_eq_u32_e64 s0, 0, v88
	v_mul_f64_e32 v[78:79], s[6:7], v[60:61]
	v_mul_f64_e32 v[80:81], s[12:13], v[60:61]
	;; [unrolled: 1-line block ×10, first 2 shown]
	v_add_f64_e32 v[12:13], v[48:49], v[12:13]
	v_fma_f64 v[93:94], v[34:35], s[26:27], v[62:63]
	v_fma_f64 v[95:96], v[34:35], s[34:35], v[64:65]
	v_fma_f64 v[97:98], v[34:35], s[42:43], v[66:67]
	v_fma_f64 v[66:67], v[34:35], s[22:23], v[66:67]
	v_fma_f64 v[99:100], v[34:35], s[40:41], v[68:69]
	v_fma_f64 v[101:102], v[34:35], s[36:37], v[70:71]
	v_fma_f64 v[70:71], v[34:35], s[30:31], v[70:71]
	v_fma_f64 v[62:63], v[34:35], s[44:45], v[62:63]
	v_fma_f64 v[68:69], v[34:35], s[28:29], v[68:69]
	v_fma_f64 v[103:104], v[34:35], s[38:39], v[32:33]
	v_fma_f64 v[64:65], v[34:35], s[24:25], v[64:65]
	v_fma_f64 v[32:33], v[34:35], s[20:21], v[32:33]
	v_add_f64_e64 v[34:35], v[50:51], -v[18:19]
	v_mul_f64_e32 v[115:116], s[6:7], v[72:73]
	v_mul_f64_e32 v[72:73], s[16:17], v[72:73]
	v_fma_f64 v[117:118], v[74:75], s[24:25], v[78:79]
	v_fma_f64 v[78:79], v[74:75], s[34:35], v[78:79]
	;; [unrolled: 1-line block ×12, first 2 shown]
	v_mul_f64_e32 v[129:130], s[12:13], v[105:106]
	v_mul_f64_e32 v[131:132], s[16:17], v[105:106]
	;; [unrolled: 1-line block ×6, first 2 shown]
	v_add_f64_e32 v[12:13], v[40:41], v[12:13]
	v_add_f64_e32 v[74:75], v[93:94], v[4:5]
	;; [unrolled: 1-line block ×13, first 2 shown]
	v_add_f64_e64 v[32:33], v[42:43], -v[38:39]
	v_add_f64_e32 v[103:104], v[20:21], v[56:57]
	v_fma_f64 v[139:140], v[34:35], s[20:21], v[107:108]
	v_fma_f64 v[107:108], v[34:35], s[38:39], v[107:108]
	;; [unrolled: 1-line block ×12, first 2 shown]
	v_add_f64_e32 v[12:13], v[20:21], v[12:13]
	v_add_f64_e32 v[72:73], v[117:118], v[74:75]
	;; [unrolled: 1-line block ×13, first 2 shown]
	v_add_f64_e64 v[78:79], v[22:23], -v[58:59]
	v_add_f64_e32 v[82:83], v[24:25], v[28:29]
	v_mul_f64_e32 v[91:92], s[16:17], v[103:104]
	v_mul_f64_e32 v[95:96], s[2:3], v[103:104]
	;; [unrolled: 1-line block ×4, first 2 shown]
	v_fma_f64 v[117:118], v[32:33], s[42:43], v[129:130]
	v_fma_f64 v[119:120], v[32:33], s[22:23], v[129:130]
	;; [unrolled: 1-line block ×7, first 2 shown]
	v_mul_f64_e32 v[97:98], s[6:7], v[103:104]
	v_mul_f64_e32 v[103:104], s[12:13], v[103:104]
	v_fma_f64 v[125:126], v[32:33], s[44:45], v[133:134]
	v_fma_f64 v[127:128], v[32:33], s[26:27], v[133:134]
	v_fma_f64 v[133:134], v[32:33], s[34:35], v[105:106]
	v_fma_f64 v[105:106], v[32:33], s[24:25], v[105:106]
	v_fma_f64 v[32:33], v[32:33], s[36:37], v[137:138]
	v_add_f64_e32 v[12:13], v[24:25], v[12:13]
	v_add_f64_e32 v[72:73], v[139:140], v[72:73]
	v_add_f64_e32 v[74:75], v[109:110], v[74:75]
	v_add_f64_e32 v[80:81], v[145:146], v[80:81]
	v_add_f64_e32 v[66:67], v[113:114], v[66:67]
	v_add_f64_e32 v[84:85], v[147:148], v[84:85]
	v_add_f64_e32 v[93:94], v[149:150], v[93:94]
	v_add_f64_e32 v[34:35], v[34:35], v[60:61]
	v_add_f64_e32 v[60:61], v[107:108], v[62:63]
	v_add_f64_e32 v[62:63], v[115:116], v[68:69]
	v_add_f64_e32 v[68:69], v[111:112], v[70:71]
	v_add_f64_e32 v[64:65], v[141:142], v[64:65]
	v_add_f64_e32 v[4:5], v[143:144], v[4:5]
	v_add_f64_e64 v[70:71], v[26:27], -v[30:31]
	v_mul_f64_e32 v[107:108], s[18:19], v[82:83]
	v_mul_f64_e32 v[109:110], s[14:15], v[82:83]
	;; [unrolled: 1-line block ×4, first 2 shown]
	v_fma_f64 v[137:138], v[78:79], s[40:41], v[91:92]
	v_fma_f64 v[139:140], v[78:79], s[38:39], v[95:96]
	;; [unrolled: 1-line block ×5, first 2 shown]
	v_mul_f64_e32 v[111:112], s[16:17], v[82:83]
	v_mul_f64_e32 v[82:83], s[2:3], v[82:83]
	v_fma_f64 v[91:92], v[78:79], s[28:29], v[91:92]
	v_fma_f64 v[141:142], v[78:79], s[24:25], v[97:98]
	;; [unrolled: 1-line block ×7, first 2 shown]
	v_add_f64_e32 v[12:13], v[28:29], v[12:13]
	v_add_f64_e32 v[72:73], v[117:118], v[72:73]
	;; [unrolled: 1-line block ×13, first 2 shown]
	v_fma_f64 v[68:69], v[70:71], s[36:37], v[107:108]
	v_fma_f64 v[101:102], v[70:71], s[30:31], v[107:108]
	;; [unrolled: 1-line block ×12, first 2 shown]
	v_add_f64_e32 v[12:13], v[56:57], v[12:13]
	v_add_f64_e32 v[72:73], v[137:138], v[72:73]
	;; [unrolled: 1-line block ×23, first 2 shown]
	v_mul_u32_u24_e32 v4, 52, v14
	s_delay_alu instid0(VALU_DEP_1) | instskip(NEXT) | instid1(VALU_DEP_1)
	v_lshl_add_u32 v91, v4, 3, 0
	v_mad_u32_u24 v4, 0x68, v88, v91
	v_lshl_add_u32 v92, v88, 3, v91
	v_lshl_add_u32 v5, v89, 3, v91
	;; [unrolled: 1-line block ×3, first 2 shown]
	s_delay_alu instid0(VALU_DEP_4) | instskip(SKIP_1) | instid1(VALU_DEP_1)
	v_mad_i32_i24 v93, 0xffffffa0, v88, v4
	v_add_f64_e32 v[12:13], v[16:17], v[12:13]
	v_add_f64_e32 v[78:79], v[8:9], v[12:13]
	;; [unrolled: 1-line block ×5, first 2 shown]
	s_delay_alu instid0(VALU_DEP_4)
	v_add_f64_e32 v[64:65], v[0:1], v[78:79]
	ds_store_2addr_b64 v4, v[74:75], v[80:81] offset0:4 offset1:5
	ds_store_2addr_b64 v4, v[84:85], v[34:35] offset0:6 offset1:7
	;; [unrolled: 1-line block ×4, first 2 shown]
	ds_store_b64 v4, v[12:13] offset:96
	ds_store_2addr_b64 v4, v[64:65], v[68:69] offset1:1
	ds_store_2addr_b64 v4, v[62:63], v[70:71] offset0:2 offset1:3
	global_wb scope:SCOPE_SE
	s_wait_dscnt 0x0
	s_barrier_signal -1
	s_barrier_wait -1
	global_inv scope:SCOPE_SE
	ds_load_b64 v[80:81], v92
	ds_load_2addr_b64 v[64:67], v93 offset0:13 offset1:17
	ds_load_2addr_b64 v[72:75], v93 offset0:21 offset1:26
	;; [unrolled: 1-line block ×4, first 2 shown]
	ds_load_b64 v[78:79], v94
	ds_load_b64 v[82:83], v5
	ds_load_b64 v[84:85], v93 offset:376
                                        ; implicit-def: $vgpr32_vgpr33
	s_and_saveexec_b32 s1, s0
	s_cbranch_execz .LBB0_15
; %bb.14:
	ds_load_2addr_b64 v[12:15], v91 offset0:12 offset1:25
	ds_load_2addr_b64 v[32:35], v91 offset0:38 offset1:51
.LBB0_15:
	s_wait_alu 0xfffe
	s_or_b32 exec_lo, exec_lo, s1
	v_add_f64_e32 v[95:96], v[46:47], v[6:7]
	v_add_f64_e64 v[0:1], v[44:45], -v[0:1]
	v_add_f64_e64 v[8:9], v[52:53], -v[8:9]
	v_add_f64_e32 v[46:47], v[46:47], v[2:3]
	v_add_f64_e64 v[16:17], v[48:49], -v[16:17]
	v_add_f64_e32 v[48:49], v[54:55], v[10:11]
	v_add_f64_e64 v[36:37], v[40:41], -v[36:37]
	v_add_f64_e64 v[20:21], v[20:21], -v[56:57]
	;; [unrolled: 1-line block ×3, first 2 shown]
	global_wb scope:SCOPE_SE
	s_wait_dscnt 0x0
	s_barrier_signal -1
	s_barrier_wait -1
	global_inv scope:SCOPE_SE
	v_add_f64_e32 v[95:96], v[54:55], v[95:96]
	v_mul_f64_e32 v[52:53], s[44:45], v[0:1]
	v_mul_f64_e32 v[97:98], s[22:23], v[0:1]
	;; [unrolled: 1-line block ×18, first 2 shown]
	v_add_f64_e32 v[95:96], v[50:51], v[95:96]
	v_fma_f64 v[111:112], v[46:47], s[14:15], v[52:53]
	v_fma_f64 v[52:53], v[46:47], s[14:15], -v[52:53]
	v_fma_f64 v[115:116], v[46:47], s[12:13], v[97:98]
	v_fma_f64 v[117:118], v[46:47], s[16:17], v[99:100]
	v_fma_f64 v[97:98], v[46:47], s[12:13], -v[97:98]
	v_fma_f64 v[119:120], v[46:47], s[18:19], v[101:102]
	v_fma_f64 v[101:102], v[46:47], s[18:19], -v[101:102]
	v_fma_f64 v[99:100], v[46:47], s[16:17], -v[99:100]
	v_fma_f64 v[129:130], v[48:49], s[6:7], v[54:55]
	v_fma_f64 v[54:55], v[48:49], s[6:7], -v[54:55]
	v_fma_f64 v[131:132], v[48:49], s[12:13], v[103:104]
	;; [unrolled: 2-line block ×6, first 2 shown]
	v_fma_f64 v[8:9], v[48:49], s[14:15], -v[8:9]
	v_add_f64_e32 v[44:45], v[42:43], v[95:96]
	v_mul_f64_e32 v[95:96], s[34:35], v[0:1]
	v_mul_f64_e32 v[0:1], s[38:39], v[0:1]
	v_add_f64_e32 v[48:49], v[111:112], v[6:7]
	v_add_f64_e32 v[52:53], v[52:53], v[6:7]
	;; [unrolled: 1-line block ×7, first 2 shown]
	v_fma_f64 v[113:114], v[46:47], s[6:7], -v[95:96]
	v_fma_f64 v[121:122], v[46:47], s[2:3], -v[0:1]
	v_fma_f64 v[95:96], v[46:47], s[6:7], v[95:96]
	v_fma_f64 v[0:1], v[46:47], s[2:3], v[0:1]
	v_add_f64_e32 v[46:47], v[18:19], v[50:51]
	v_mul_f64_e32 v[50:51], s[30:31], v[16:17]
	v_mul_f64_e32 v[16:17], s[28:29], v[16:17]
	v_add_f64_e32 v[97:98], v[107:108], v[97:98]
	v_add_f64_e32 v[8:9], v[8:9], v[101:102]
	;; [unrolled: 1-line block ×4, first 2 shown]
	v_mul_f64_e32 v[109:110], s[36:37], v[20:21]
	v_add_f64_e32 v[44:45], v[26:27], v[44:45]
	v_add_f64_e32 v[111:112], v[113:114], v[6:7]
	;; [unrolled: 1-line block ×8, first 2 shown]
	v_mul_f64_e32 v[121:122], s[26:27], v[36:37]
	v_fma_f64 v[145:146], v[46:47], s[2:3], v[40:41]
	v_fma_f64 v[40:41], v[46:47], s[2:3], -v[40:41]
	v_fma_f64 v[147:148], v[46:47], s[18:19], v[50:51]
	v_fma_f64 v[50:51], v[46:47], s[18:19], -v[50:51]
	;; [unrolled: 2-line block ×6, first 2 shown]
	v_add_f64_e32 v[46:47], v[129:130], v[48:49]
	v_add_f64_e32 v[48:49], v[54:55], v[52:53]
	v_fma_f64 v[129:130], v[42:43], s[2:3], -v[141:142]
	v_add_f64_e32 v[26:27], v[26:27], v[30:31]
	v_add_f64_e32 v[6:7], v[30:31], v[44:45]
	v_mul_f64_e32 v[44:45], s[22:23], v[36:37]
	v_mul_f64_e32 v[36:37], s[24:25], v[36:37]
	v_add_f64_e32 v[52:53], v[103:104], v[111:112]
	v_add_f64_e32 v[54:55], v[135:136], v[113:114]
	;; [unrolled: 1-line block ×7, first 2 shown]
	v_mul_f64_e32 v[105:106], s[34:35], v[20:21]
	v_mul_f64_e32 v[111:112], s[26:27], v[20:21]
	v_fma_f64 v[115:116], v[42:43], s[16:17], v[56:57]
	v_fma_f64 v[56:57], v[42:43], s[16:17], -v[56:57]
	v_fma_f64 v[117:118], v[42:43], s[14:15], v[121:122]
	v_fma_f64 v[119:120], v[42:43], s[14:15], -v[121:122]
	v_fma_f64 v[121:122], v[42:43], s[2:3], v[141:142]
	v_fma_f64 v[131:132], v[42:43], s[18:19], v[143:144]
	v_fma_f64 v[133:134], v[42:43], s[18:19], -v[143:144]
	v_mul_f64_e32 v[30:31], s[30:31], v[24:25]
	v_add_f64_e32 v[8:9], v[16:17], v[8:9]
	v_add_f64_e32 v[16:17], v[127:128], v[99:100]
	;; [unrolled: 1-line block ×3, first 2 shown]
	v_mul_f64_e32 v[99:100], s[28:29], v[24:25]
	v_fma_f64 v[127:128], v[22:23], s[18:19], v[109:110]
	v_fma_f64 v[109:110], v[22:23], s[18:19], -v[109:110]
	v_add_f64_e32 v[6:7], v[58:59], v[6:7]
	v_mul_f64_e32 v[58:59], s[20:21], v[20:21]
	v_mul_f64_e32 v[20:21], s[22:23], v[20:21]
	v_fma_f64 v[113:114], v[42:43], s[12:13], v[44:45]
	v_fma_f64 v[44:45], v[42:43], s[12:13], -v[44:45]
	v_fma_f64 v[135:136], v[42:43], s[6:7], v[36:37]
	v_fma_f64 v[36:37], v[42:43], s[6:7], -v[36:37]
	v_add_f64_e32 v[42:43], v[145:146], v[46:47]
	v_add_f64_e32 v[46:47], v[50:51], v[52:53]
	;; [unrolled: 1-line block ×9, first 2 shown]
	v_mul_f64_e32 v[101:102], s[24:25], v[24:25]
	v_mul_f64_e32 v[103:104], s[22:23], v[24:25]
	v_fma_f64 v[107:108], v[22:23], s[16:17], v[28:29]
	v_fma_f64 v[28:29], v[22:23], s[16:17], -v[28:29]
	v_fma_f64 v[125:126], v[22:23], s[6:7], v[105:106]
	v_fma_f64 v[105:106], v[22:23], s[6:7], -v[105:106]
	;; [unrolled: 2-line block ×3, first 2 shown]
	v_add_f64_e32 v[16:17], v[133:134], v[16:17]
	v_add_f64_e32 v[6:7], v[38:39], v[6:7]
	v_mul_f64_e32 v[38:39], s[26:27], v[24:25]
	v_mul_f64_e32 v[24:25], s[20:21], v[24:25]
	v_fma_f64 v[123:124], v[22:23], s[2:3], v[58:59]
	v_fma_f64 v[58:59], v[22:23], s[2:3], -v[58:59]
	v_fma_f64 v[139:140], v[22:23], s[12:13], v[20:21]
	v_fma_f64 v[20:21], v[22:23], s[12:13], -v[20:21]
	v_add_f64_e32 v[22:23], v[113:114], v[42:43]
	v_add_f64_e32 v[40:41], v[44:45], v[40:41]
	v_add_f64_e32 v[42:43], v[56:57], v[46:47]
	v_add_f64_e32 v[44:45], v[121:122], v[48:49]
	v_add_f64_e32 v[48:49], v[131:132], v[52:53]
	v_add_f64_e32 v[46:47], v[129:130], v[50:51]
	v_add_f64_e32 v[50:51], v[135:136], v[54:55]
	v_add_f64_e32 v[8:9], v[36:37], v[8:9]
	v_add_f64_e32 v[36:37], v[119:120], v[97:98]
	v_add_f64_e32 v[52:53], v[115:116], v[95:96]
	v_add_f64_e32 v[0:1], v[117:118], v[0:1]
	v_fma_f64 v[56:57], v[26:27], s[16:17], v[99:100]
	v_fma_f64 v[95:96], v[26:27], s[16:17], -v[99:100]
	v_fma_f64 v[97:98], v[26:27], s[6:7], v[101:102]
	v_fma_f64 v[99:100], v[26:27], s[6:7], -v[101:102]
	v_fma_f64 v[101:102], v[26:27], s[12:13], v[103:104]
	v_fma_f64 v[103:104], v[26:27], s[12:13], -v[103:104]
	v_add_f64_e32 v[16:17], v[111:112], v[16:17]
	v_add_f64_e32 v[6:7], v[18:19], v[6:7]
	v_fma_f64 v[18:19], v[26:27], s[18:19], v[30:31]
	v_fma_f64 v[30:31], v[26:27], s[18:19], -v[30:31]
	v_fma_f64 v[54:55], v[26:27], s[14:15], v[38:39]
	v_fma_f64 v[38:39], v[26:27], s[14:15], -v[38:39]
	;; [unrolled: 2-line block ×3, first 2 shown]
	v_add_f64_e32 v[22:23], v[107:108], v[22:23]
	v_add_f64_e32 v[26:27], v[28:29], v[40:41]
	;; [unrolled: 1-line block ×25, first 2 shown]
	ds_store_2addr_b64 v4, v[22:23], v[28:29] offset0:4 offset1:5
	ds_store_2addr_b64 v4, v[30:31], v[8:9] offset0:6 offset1:7
	;; [unrolled: 1-line block ×4, first 2 shown]
	ds_store_b64 v4, v[0:1] offset:96
	ds_store_2addr_b64 v4, v[24:25], v[36:37] offset0:2 offset1:3
	ds_store_2addr_b64 v4, v[2:3], v[10:11] offset1:1
	global_wb scope:SCOPE_SE
	s_wait_dscnt 0x0
	s_barrier_signal -1
	s_barrier_wait -1
	global_inv scope:SCOPE_SE
	ds_load_b64 v[30:31], v92
	ds_load_2addr_b64 v[8:11], v93 offset0:13 offset1:17
	ds_load_2addr_b64 v[20:23], v93 offset0:21 offset1:26
	;; [unrolled: 1-line block ×4, first 2 shown]
	ds_load_b64 v[38:39], v94
	ds_load_b64 v[36:37], v5
	ds_load_b64 v[42:43], v93 offset:376
                                        ; implicit-def: $vgpr4_vgpr5
	s_and_saveexec_b32 s1, s0
	s_cbranch_execz .LBB0_17
; %bb.16:
	ds_load_2addr_b64 v[0:3], v91 offset0:12 offset1:25
	ds_load_2addr_b64 v[4:7], v91 offset0:38 offset1:51
.LBB0_17:
	s_wait_alu 0xfffe
	s_or_b32 exec_lo, exec_lo, s1
	s_and_saveexec_b32 s1, vcc_lo
	s_cbranch_execz .LBB0_20
; %bb.18:
	v_mul_i32_i24_e32 v28, 3, v90
	v_dual_mov_b32 v29, 0 :: v_dual_add_nc_u32 v132, 39, v88
	v_mul_u32_u24_e32 v44, 3, v88
	v_mad_co_u64_u32 v[129:130], null, s8, v88, 0
	s_delay_alu instid0(VALU_DEP_3) | instskip(SKIP_1) | instid1(VALU_DEP_4)
	v_lshlrev_b64_e32 v[40:41], 4, v[28:29]
	v_mul_i32_i24_e32 v28, 3, v89
	v_lshlrev_b32_e32 v53, 4, v44
	v_add_nc_u32_e32 v131, 26, v88
	s_delay_alu instid0(VALU_DEP_3) | instskip(SKIP_4) | instid1(VALU_DEP_4)
	v_lshlrev_b64_e32 v[57:58], 4, v[28:29]
	v_add_co_u32 v40, vcc_lo, s4, v40
	s_wait_alu 0xfffd
	v_add_co_ci_u32_e32 v41, vcc_lo, s5, v41, vcc_lo
	v_mov_b32_e32 v28, v130
	v_add_co_u32 v57, vcc_lo, s4, v57
	s_wait_alu 0xfffd
	v_add_co_ci_u32_e32 v58, vcc_lo, s5, v58, vcc_lo
	s_clause 0x8
	global_load_b128 v[45:48], v53, s[4:5] offset:32
	global_load_b128 v[49:52], v53, s[4:5] offset:16
	global_load_b128 v[53:56], v53, s[4:5]
	global_load_b128 v[89:92], v[40:41], off offset:16
	global_load_b128 v[93:96], v[40:41], off
	global_load_b128 v[97:100], v[40:41], off offset:32
	global_load_b128 v[101:104], v[57:58], off offset:16
	global_load_b128 v[105:108], v[57:58], off
	global_load_b128 v[109:112], v[57:58], off offset:32
	v_add_co_u32 v40, vcc_lo, s10, v76
	s_wait_alu 0xfffd
	v_add_co_ci_u32_e32 v41, vcc_lo, s11, v77, vcc_lo
	s_wait_loadcnt 0x5
	v_mul_f64_e32 v[117:118], v[70:71], v[91:92]
	s_wait_loadcnt_dscnt 0x405
	v_mul_f64_e32 v[119:120], v[20:21], v[95:96]
	s_wait_dscnt 0x4
	v_mul_f64_e32 v[115:116], v[16:17], v[47:48]
	v_mul_f64_e32 v[57:58], v[74:75], v[51:52]
	;; [unrolled: 1-line block ×4, first 2 shown]
	s_wait_loadcnt_dscnt 0x300
	v_mul_f64_e32 v[121:122], v[42:43], v[99:100]
	v_mul_f64_e32 v[95:96], v[72:73], v[95:96]
	s_wait_loadcnt 0x2
	v_mul_f64_e32 v[123:124], v[68:69], v[103:104]
	s_wait_loadcnt 0x1
	;; [unrolled: 2-line block ×3, first 2 shown]
	v_mul_f64_e32 v[127:128], v[62:63], v[111:112]
	v_mul_f64_e32 v[111:112], v[18:19], v[111:112]
	;; [unrolled: 1-line block ×8, first 2 shown]
	v_fma_f64 v[26:27], v[26:27], v[89:90], v[117:118]
	v_fma_f64 v[59:60], v[60:61], v[45:46], -v[115:116]
	v_fma_f64 v[22:23], v[22:23], v[49:50], v[57:58]
	v_fma_f64 v[57:58], v[64:65], v[53:54], -v[113:114]
	v_fma_f64 v[8:9], v[8:9], v[53:54], v[55:56]
	v_fma_f64 v[20:21], v[20:21], v[93:94], v[95:96]
	;; [unrolled: 1-line block ×3, first 2 shown]
	v_fma_f64 v[53:54], v[66:67], v[105:106], -v[125:126]
	v_fma_f64 v[18:19], v[18:19], v[109:110], v[127:128]
	v_fma_f64 v[61:62], v[62:63], v[109:110], -v[111:112]
	v_fma_f64 v[42:43], v[42:43], v[97:98], v[99:100]
	;; [unrolled: 2-line block ×3, first 2 shown]
	v_fma_f64 v[10:11], v[10:11], v[105:106], v[107:108]
	v_fma_f64 v[55:56], v[68:69], v[101:102], -v[103:104]
	v_fma_f64 v[45:46], v[72:73], v[93:94], -v[119:120]
	;; [unrolled: 1-line block ×4, first 2 shown]
	v_mad_co_u64_u32 v[65:66], null, s8, v87, 0
	v_mad_co_u64_u32 v[63:64], null, s8, v86, 0
	v_add_nc_u32_e32 v108, 43, v88
	v_add_nc_u32_e32 v77, 13, v88
	;; [unrolled: 1-line block ×3, first 2 shown]
	v_mad_co_u64_u32 v[69:70], null, s8, v131, 0
	v_mad_co_u64_u32 v[71:72], null, s8, v132, 0
	s_delay_alu instid0(VALU_DEP_3) | instskip(SKIP_1) | instid1(VALU_DEP_1)
	v_mad_co_u64_u32 v[73:74], null, s8, v105, 0
	v_add_nc_u32_e32 v107, 30, v88
	v_mad_co_u64_u32 v[75:76], null, s8, v107, 0
	v_add_f64_e64 v[95:96], v[38:39], -v[26:27]
	v_add_f64_e64 v[93:94], v[30:31], -v[22:23]
	;; [unrolled: 1-line block ×3, first 2 shown]
	v_mov_b32_e32 v26, v70
	v_add_f64_e64 v[97:98], v[36:37], -v[24:25]
	v_add_f64_e64 v[24:25], v[53:54], -v[61:62]
	;; [unrolled: 1-line block ×7, first 2 shown]
	v_mov_b32_e32 v17, v66
	v_mad_co_u64_u32 v[84:85], null, s8, v108, 0
	v_add_f64_e64 v[47:48], v[45:46], -v[47:48]
	v_add_f64_e64 v[103:104], v[78:79], -v[51:52]
	v_dual_mov_b32 v16, v64 :: v_dual_add_nc_u32 v109, 21, v88
	v_mad_co_u64_u32 v[18:19], null, s9, v88, v[28:29]
	v_mad_co_u64_u32 v[67:68], null, s8, v77, 0
	s_delay_alu instid0(VALU_DEP_3)
	v_mad_co_u64_u32 v[55:56], null, s9, v86, v[16:17]
	v_mov_b32_e32 v56, v85
	v_mad_co_u64_u32 v[89:90], null, s8, v109, 0
	v_dual_mov_b32 v27, v72 :: v_dual_mov_b32 v130, v18
	v_mov_b32_e32 v16, v74
	v_mad_co_u64_u32 v[61:62], null, s9, v87, v[17:18]
	v_dual_mov_b32 v19, v68 :: v_dual_add_nc_u32 v110, 34, v88
	v_dual_mov_b32 v17, v90 :: v_dual_mov_b32 v64, v55
	v_mad_co_u64_u32 v[85:86], null, s9, v131, v[26:27]
	s_delay_alu instid0(VALU_DEP_3) | instskip(NEXT) | instid1(VALU_DEP_3)
	v_mad_co_u64_u32 v[91:92], null, s8, v110, 0
	v_mad_co_u64_u32 v[86:87], null, s9, v105, v[16:17]
	v_add_nc_u32_e32 v111, 47, v88
	v_fma_f64 v[57:58], v[57:58], 2.0, -v[22:23]
	v_fma_f64 v[87:88], v[38:39], 2.0, -v[95:96]
	;; [unrolled: 1-line block ×3, first 2 shown]
	v_mov_b32_e32 v62, v92
	v_fma_f64 v[53:54], v[20:21], 2.0, -v[42:43]
	v_fma_f64 v[30:31], v[30:31], 2.0, -v[93:94]
	v_fma_f64 v[8:9], v[8:9], 2.0, -v[59:60]
	v_fma_f64 v[80:81], v[80:81], 2.0, -v[49:50]
	v_fma_f64 v[105:106], v[36:37], 2.0, -v[97:98]
	v_fma_f64 v[36:37], v[10:11], 2.0, -v[99:100]
	v_fma_f64 v[82:83], v[82:83], 2.0, -v[101:102]
	v_mov_b32_e32 v28, v76
	v_mad_co_u64_u32 v[76:77], null, s9, v77, v[19:20]
	v_fma_f64 v[77:78], v[78:79], 2.0, -v[103:104]
	v_fma_f64 v[45:46], v[45:46], 2.0, -v[47:48]
	v_mad_co_u64_u32 v[51:52], null, s8, v111, 0
	v_mad_co_u64_u32 v[16:17], null, s9, v109, v[17:18]
	;; [unrolled: 1-line block ×4, first 2 shown]
	v_mov_b32_e32 v70, v85
	v_mov_b32_e32 v68, v76
	;; [unrolled: 1-line block ×5, first 2 shown]
	v_add_f64_e32 v[10:11], v[93:94], v[22:23]
	v_mov_b32_e32 v72, v26
	v_add_f64_e32 v[22:23], v[97:98], v[24:25]
	v_mad_co_u64_u32 v[19:20], null, s9, v108, v[56:57]
	v_mad_co_u64_u32 v[20:21], null, s9, v110, v[62:63]
	;; [unrolled: 1-line block ×3, first 2 shown]
	v_mov_b32_e32 v66, v61
	v_lshlrev_b64_e32 v[55:56], 4, v[129:130]
	v_mov_b32_e32 v85, v19
	v_add_f64_e64 v[18:19], v[30:31], -v[8:9]
	v_add_f64_e64 v[8:9], v[49:50], -v[59:60]
	;; [unrolled: 1-line block ×3, first 2 shown]
	v_mov_b32_e32 v52, v17
	v_add_f64_e64 v[16:17], v[80:81], -v[57:58]
	v_add_f64_e64 v[24:25], v[82:83], -v[38:39]
	v_mov_b32_e32 v92, v20
	v_add_f64_e64 v[20:21], v[101:102], -v[99:100]
	v_add_f64_e32 v[38:39], v[95:96], v[47:48]
	v_add_f64_e64 v[47:48], v[87:88], -v[53:54]
	v_add_f64_e64 v[45:46], v[77:78], -v[45:46]
	;; [unrolled: 1-line block ×3, first 2 shown]
	v_lshlrev_b64_e32 v[61:62], 4, v[63:64]
	v_lshlrev_b64_e32 v[63:64], 4, v[65:66]
	v_add_co_u32 v99, vcc_lo, v40, v55
	s_wait_alu 0xfffd
	v_add_co_ci_u32_e32 v100, vcc_lo, v41, v56, vcc_lo
	v_lshlrev_b64_e32 v[65:66], 4, v[67:68]
	v_add_co_u32 v109, vcc_lo, v40, v61
	s_wait_alu 0xfffd
	v_add_co_ci_u32_e32 v110, vcc_lo, v41, v62, vcc_lo
	v_lshlrev_b64_e32 v[67:68], 4, v[69:70]
	v_lshlrev_b64_e32 v[42:43], 4, v[73:74]
	;; [unrolled: 1-line block ×7, first 2 shown]
	v_add_co_u32 v111, vcc_lo, v40, v63
	v_fma_f64 v[51:52], v[93:94], 2.0, -v[10:11]
	s_wait_alu 0xfffd
	v_add_co_ci_u32_e32 v112, vcc_lo, v41, v64, vcc_lo
	v_add_co_u32 v113, vcc_lo, v40, v65
	v_fma_f64 v[59:60], v[97:98], 2.0, -v[22:23]
	v_fma_f64 v[55:56], v[30:31], 2.0, -v[18:19]
	;; [unrolled: 1-line block ×4, first 2 shown]
	s_wait_alu 0xfffd
	v_add_co_ci_u32_e32 v114, vcc_lo, v41, v66, vcc_lo
	v_fma_f64 v[53:54], v[80:81], 2.0, -v[16:17]
	v_fma_f64 v[61:62], v[82:83], 2.0, -v[24:25]
	;; [unrolled: 1-line block ×3, first 2 shown]
	v_add_co_u32 v115, vcc_lo, v40, v67
	v_lshlrev_b64_e32 v[107:108], 4, v[71:72]
	v_fma_f64 v[71:72], v[87:88], 2.0, -v[47:48]
	v_fma_f64 v[69:70], v[77:78], 2.0, -v[45:46]
	s_wait_alu 0xfffd
	v_add_co_ci_u32_e32 v116, vcc_lo, v41, v68, vcc_lo
	v_fma_f64 v[67:68], v[95:96], 2.0, -v[38:39]
	v_fma_f64 v[65:66], v[103:104], 2.0, -v[36:37]
	v_add_co_u32 v30, vcc_lo, v40, v107
	s_wait_alu 0xfffd
	v_add_co_ci_u32_e32 v31, vcc_lo, v41, v108, vcc_lo
	v_add_co_u32 v42, vcc_lo, v40, v42
	s_wait_alu 0xfffd
	v_add_co_ci_u32_e32 v43, vcc_lo, v41, v43, vcc_lo
	;; [unrolled: 3-line block ×7, first 2 shown]
	s_clause 0xb
	global_store_b128 v[99:100], v[53:56], off
	global_store_b128 v[113:114], v[49:52], off
	;; [unrolled: 1-line block ×12, first 2 shown]
	s_and_b32 exec_lo, exec_lo, s0
	s_cbranch_execz .LBB0_20
; %bb.19:
	v_add_nc_u32_e32 v8, -3, v44
	s_delay_alu instid0(VALU_DEP_1) | instskip(NEXT) | instid1(VALU_DEP_1)
	v_cndmask_b32_e64 v28, v8, 36, s0
	v_lshlrev_b64_e32 v[8:9], 4, v[28:29]
	s_delay_alu instid0(VALU_DEP_1) | instskip(SKIP_1) | instid1(VALU_DEP_2)
	v_add_co_u32 v20, vcc_lo, s4, v8
	s_wait_alu 0xfffd
	v_add_co_ci_u32_e32 v21, vcc_lo, s5, v9, vcc_lo
	s_clause 0x2
	global_load_b128 v[8:11], v[20:21], off
	global_load_b128 v[16:19], v[20:21], off offset:16
	global_load_b128 v[20:23], v[20:21], off offset:32
	s_wait_loadcnt 0x2
	v_mul_f64_e32 v[24:25], v[2:3], v[10:11]
	v_mul_f64_e32 v[10:11], v[14:15], v[10:11]
	s_wait_loadcnt 0x1
	v_mul_f64_e32 v[26:27], v[4:5], v[18:19]
	v_mul_f64_e32 v[18:19], v[32:33], v[18:19]
	;; [unrolled: 3-line block ×3, first 2 shown]
	v_fma_f64 v[14:15], v[14:15], v[8:9], -v[24:25]
	v_fma_f64 v[2:3], v[2:3], v[8:9], v[10:11]
	v_fma_f64 v[8:9], v[32:33], v[16:17], -v[26:27]
	v_fma_f64 v[4:5], v[4:5], v[16:17], v[18:19]
	;; [unrolled: 2-line block ×3, first 2 shown]
	v_mad_co_u64_u32 v[20:21], null, 0x260, s8, v[40:41]
	v_mad_co_u64_u32 v[22:23], null, 0x330, s8, v[40:41]
	v_add_f64_e64 v[8:9], v[12:13], -v[8:9]
	v_add_f64_e64 v[16:17], v[0:1], -v[4:5]
	;; [unrolled: 1-line block ×4, first 2 shown]
	s_delay_alu instid0(VALU_DEP_4) | instskip(NEXT) | instid1(VALU_DEP_4)
	v_fma_f64 v[12:13], v[12:13], 2.0, -v[8:9]
	v_fma_f64 v[18:19], v[0:1], 2.0, -v[16:17]
	s_delay_alu instid0(VALU_DEP_4) | instskip(NEXT) | instid1(VALU_DEP_4)
	v_fma_f64 v[6:7], v[14:15], 2.0, -v[10:11]
	v_fma_f64 v[2:3], v[2:3], 2.0, -v[4:5]
	v_add_f64_e64 v[0:1], v[8:9], -v[4:5]
	s_delay_alu instid0(VALU_DEP_3) | instskip(NEXT) | instid1(VALU_DEP_3)
	v_add_f64_e64 v[4:5], v[12:13], -v[6:7]
	v_add_f64_e64 v[6:7], v[18:19], -v[2:3]
	v_add_f64_e32 v[2:3], v[16:17], v[10:11]
	s_delay_alu instid0(VALU_DEP_4) | instskip(NEXT) | instid1(VALU_DEP_4)
	v_fma_f64 v[8:9], v[8:9], 2.0, -v[0:1]
	v_fma_f64 v[12:13], v[12:13], 2.0, -v[4:5]
	s_delay_alu instid0(VALU_DEP_4) | instskip(NEXT) | instid1(VALU_DEP_4)
	v_fma_f64 v[14:15], v[18:19], 2.0, -v[6:7]
	v_fma_f64 v[10:11], v[16:17], 2.0, -v[2:3]
	v_mad_co_u64_u32 v[16:17], null, 0xc0, s8, v[40:41]
	v_mad_co_u64_u32 v[18:19], null, 0x190, s8, v[40:41]
	s_delay_alu instid0(VALU_DEP_1) | instskip(NEXT) | instid1(VALU_DEP_2)
	v_mad_co_u64_u32 v[24:25], null, 0xc0, s9, v[17:18]
	v_mad_co_u64_u32 v[25:26], null, 0x190, s9, v[19:20]
	;; [unrolled: 1-line block ×3, first 2 shown]
	s_delay_alu instid0(VALU_DEP_3) | instskip(SKIP_1) | instid1(VALU_DEP_4)
	v_mov_b32_e32 v17, v24
	v_mad_co_u64_u32 v[27:28], null, 0x330, s9, v[23:24]
	v_mov_b32_e32 v19, v25
	s_delay_alu instid0(VALU_DEP_4) | instskip(NEXT) | instid1(VALU_DEP_3)
	v_mov_b32_e32 v21, v26
	v_mov_b32_e32 v23, v27
	s_clause 0x3
	global_store_b128 v[16:17], v[12:15], off
	global_store_b128 v[18:19], v[8:11], off
	;; [unrolled: 1-line block ×4, first 2 shown]
.LBB0_20:
	s_nop 0
	s_sendmsg sendmsg(MSG_DEALLOC_VGPRS)
	s_endpgm
	.section	.rodata,"a",@progbits
	.p2align	6, 0x0
	.amdhsa_kernel fft_rtc_fwd_len52_factors_13_4_wgs_64_tpt_4_halfLds_dp_ip_CI_sbrr_dirReg
		.amdhsa_group_segment_fixed_size 0
		.amdhsa_private_segment_fixed_size 0
		.amdhsa_kernarg_size 88
		.amdhsa_user_sgpr_count 2
		.amdhsa_user_sgpr_dispatch_ptr 0
		.amdhsa_user_sgpr_queue_ptr 0
		.amdhsa_user_sgpr_kernarg_segment_ptr 1
		.amdhsa_user_sgpr_dispatch_id 0
		.amdhsa_user_sgpr_private_segment_size 0
		.amdhsa_wavefront_size32 1
		.amdhsa_uses_dynamic_stack 0
		.amdhsa_enable_private_segment 0
		.amdhsa_system_sgpr_workgroup_id_x 1
		.amdhsa_system_sgpr_workgroup_id_y 0
		.amdhsa_system_sgpr_workgroup_id_z 0
		.amdhsa_system_sgpr_workgroup_info 0
		.amdhsa_system_vgpr_workitem_id 0
		.amdhsa_next_free_vgpr 157
		.amdhsa_next_free_sgpr 46
		.amdhsa_reserve_vcc 1
		.amdhsa_float_round_mode_32 0
		.amdhsa_float_round_mode_16_64 0
		.amdhsa_float_denorm_mode_32 3
		.amdhsa_float_denorm_mode_16_64 3
		.amdhsa_fp16_overflow 0
		.amdhsa_workgroup_processor_mode 1
		.amdhsa_memory_ordered 1
		.amdhsa_forward_progress 0
		.amdhsa_round_robin_scheduling 0
		.amdhsa_exception_fp_ieee_invalid_op 0
		.amdhsa_exception_fp_denorm_src 0
		.amdhsa_exception_fp_ieee_div_zero 0
		.amdhsa_exception_fp_ieee_overflow 0
		.amdhsa_exception_fp_ieee_underflow 0
		.amdhsa_exception_fp_ieee_inexact 0
		.amdhsa_exception_int_div_zero 0
	.end_amdhsa_kernel
	.text
.Lfunc_end0:
	.size	fft_rtc_fwd_len52_factors_13_4_wgs_64_tpt_4_halfLds_dp_ip_CI_sbrr_dirReg, .Lfunc_end0-fft_rtc_fwd_len52_factors_13_4_wgs_64_tpt_4_halfLds_dp_ip_CI_sbrr_dirReg
                                        ; -- End function
	.section	.AMDGPU.csdata,"",@progbits
; Kernel info:
; codeLenInByte = 7308
; NumSgprs: 48
; NumVgprs: 157
; ScratchSize: 0
; MemoryBound: 1
; FloatMode: 240
; IeeeMode: 1
; LDSByteSize: 0 bytes/workgroup (compile time only)
; SGPRBlocks: 5
; VGPRBlocks: 19
; NumSGPRsForWavesPerEU: 48
; NumVGPRsForWavesPerEU: 157
; Occupancy: 9
; WaveLimiterHint : 1
; COMPUTE_PGM_RSRC2:SCRATCH_EN: 0
; COMPUTE_PGM_RSRC2:USER_SGPR: 2
; COMPUTE_PGM_RSRC2:TRAP_HANDLER: 0
; COMPUTE_PGM_RSRC2:TGID_X_EN: 1
; COMPUTE_PGM_RSRC2:TGID_Y_EN: 0
; COMPUTE_PGM_RSRC2:TGID_Z_EN: 0
; COMPUTE_PGM_RSRC2:TIDIG_COMP_CNT: 0
	.text
	.p2alignl 7, 3214868480
	.fill 96, 4, 3214868480
	.type	__hip_cuid_2e46501badeeadaa,@object ; @__hip_cuid_2e46501badeeadaa
	.section	.bss,"aw",@nobits
	.globl	__hip_cuid_2e46501badeeadaa
__hip_cuid_2e46501badeeadaa:
	.byte	0                               ; 0x0
	.size	__hip_cuid_2e46501badeeadaa, 1

	.ident	"AMD clang version 19.0.0git (https://github.com/RadeonOpenCompute/llvm-project roc-6.4.0 25133 c7fe45cf4b819c5991fe208aaa96edf142730f1d)"
	.section	".note.GNU-stack","",@progbits
	.addrsig
	.addrsig_sym __hip_cuid_2e46501badeeadaa
	.amdgpu_metadata
---
amdhsa.kernels:
  - .args:
      - .actual_access:  read_only
        .address_space:  global
        .offset:         0
        .size:           8
        .value_kind:     global_buffer
      - .offset:         8
        .size:           8
        .value_kind:     by_value
      - .actual_access:  read_only
        .address_space:  global
        .offset:         16
        .size:           8
        .value_kind:     global_buffer
      - .actual_access:  read_only
        .address_space:  global
        .offset:         24
        .size:           8
        .value_kind:     global_buffer
      - .offset:         32
        .size:           8
        .value_kind:     by_value
      - .actual_access:  read_only
        .address_space:  global
        .offset:         40
        .size:           8
        .value_kind:     global_buffer
      - .actual_access:  read_only
        .address_space:  global
        .offset:         48
        .size:           8
        .value_kind:     global_buffer
      - .offset:         56
        .size:           4
        .value_kind:     by_value
      - .actual_access:  read_only
        .address_space:  global
        .offset:         64
        .size:           8
        .value_kind:     global_buffer
      - .actual_access:  read_only
        .address_space:  global
        .offset:         72
        .size:           8
        .value_kind:     global_buffer
      - .address_space:  global
        .offset:         80
        .size:           8
        .value_kind:     global_buffer
    .group_segment_fixed_size: 0
    .kernarg_segment_align: 8
    .kernarg_segment_size: 88
    .language:       OpenCL C
    .language_version:
      - 2
      - 0
    .max_flat_workgroup_size: 64
    .name:           fft_rtc_fwd_len52_factors_13_4_wgs_64_tpt_4_halfLds_dp_ip_CI_sbrr_dirReg
    .private_segment_fixed_size: 0
    .sgpr_count:     48
    .sgpr_spill_count: 0
    .symbol:         fft_rtc_fwd_len52_factors_13_4_wgs_64_tpt_4_halfLds_dp_ip_CI_sbrr_dirReg.kd
    .uniform_work_group_size: 1
    .uses_dynamic_stack: false
    .vgpr_count:     157
    .vgpr_spill_count: 0
    .wavefront_size: 32
    .workgroup_processor_mode: 1
amdhsa.target:   amdgcn-amd-amdhsa--gfx1201
amdhsa.version:
  - 1
  - 2
...

	.end_amdgpu_metadata
